;; amdgpu-corpus repo=ROCm/rocFFT kind=compiled arch=gfx1201 opt=O3
	.text
	.amdgcn_target "amdgcn-amd-amdhsa--gfx1201"
	.amdhsa_code_object_version 6
	.protected	fft_rtc_back_len520_factors_13_10_4_wgs_52_tpt_52_dp_op_CI_CI_unitstride_sbrr_R2C_dirReg ; -- Begin function fft_rtc_back_len520_factors_13_10_4_wgs_52_tpt_52_dp_op_CI_CI_unitstride_sbrr_R2C_dirReg
	.globl	fft_rtc_back_len520_factors_13_10_4_wgs_52_tpt_52_dp_op_CI_CI_unitstride_sbrr_R2C_dirReg
	.p2align	8
	.type	fft_rtc_back_len520_factors_13_10_4_wgs_52_tpt_52_dp_op_CI_CI_unitstride_sbrr_R2C_dirReg,@function
fft_rtc_back_len520_factors_13_10_4_wgs_52_tpt_52_dp_op_CI_CI_unitstride_sbrr_R2C_dirReg: ; @fft_rtc_back_len520_factors_13_10_4_wgs_52_tpt_52_dp_op_CI_CI_unitstride_sbrr_R2C_dirReg
; %bb.0:
	s_clause 0x2
	s_load_b128 s[8:11], s[0:1], 0x0
	s_load_b128 s[4:7], s[0:1], 0x58
	;; [unrolled: 1-line block ×3, first 2 shown]
	v_mul_u32_u24_e32 v1, 0x4ed, v0
	v_mov_b32_e32 v3, 0
	s_delay_alu instid0(VALU_DEP_2) | instskip(NEXT) | instid1(VALU_DEP_1)
	v_lshrrev_b32_e32 v1, 16, v1
	v_add_nc_u32_e32 v5, ttmp9, v1
	v_mov_b32_e32 v1, 0
	v_mov_b32_e32 v2, 0
	;; [unrolled: 1-line block ×3, first 2 shown]
	s_wait_kmcnt 0x0
	v_cmp_lt_u64_e64 s2, s[10:11], 2
	s_delay_alu instid0(VALU_DEP_1)
	s_and_b32 vcc_lo, exec_lo, s2
	s_cbranch_vccnz .LBB0_8
; %bb.1:
	s_load_b64 s[2:3], s[0:1], 0x10
	v_mov_b32_e32 v1, 0
	v_mov_b32_e32 v2, 0
	s_add_nc_u64 s[16:17], s[14:15], 8
	s_add_nc_u64 s[18:19], s[12:13], 8
	s_mov_b64 s[20:21], 1
	s_delay_alu instid0(VALU_DEP_1)
	v_dual_mov_b32 v61, v2 :: v_dual_mov_b32 v60, v1
	s_wait_kmcnt 0x0
	s_add_nc_u64 s[22:23], s[2:3], 8
	s_mov_b32 s3, 0
.LBB0_2:                                ; =>This Inner Loop Header: Depth=1
	s_load_b64 s[24:25], s[22:23], 0x0
                                        ; implicit-def: $vgpr64_vgpr65
	s_mov_b32 s2, exec_lo
	s_wait_kmcnt 0x0
	v_or_b32_e32 v4, s25, v6
	s_delay_alu instid0(VALU_DEP_1)
	v_cmpx_ne_u64_e32 0, v[3:4]
	s_wait_alu 0xfffe
	s_xor_b32 s26, exec_lo, s2
	s_cbranch_execz .LBB0_4
; %bb.3:                                ;   in Loop: Header=BB0_2 Depth=1
	s_cvt_f32_u32 s2, s24
	s_cvt_f32_u32 s27, s25
	s_sub_nc_u64 s[30:31], 0, s[24:25]
	s_wait_alu 0xfffe
	s_delay_alu instid0(SALU_CYCLE_1) | instskip(SKIP_1) | instid1(SALU_CYCLE_2)
	s_fmamk_f32 s2, s27, 0x4f800000, s2
	s_wait_alu 0xfffe
	v_s_rcp_f32 s2, s2
	s_delay_alu instid0(TRANS32_DEP_1) | instskip(SKIP_1) | instid1(SALU_CYCLE_2)
	s_mul_f32 s2, s2, 0x5f7ffffc
	s_wait_alu 0xfffe
	s_mul_f32 s27, s2, 0x2f800000
	s_wait_alu 0xfffe
	s_delay_alu instid0(SALU_CYCLE_2) | instskip(SKIP_1) | instid1(SALU_CYCLE_2)
	s_trunc_f32 s27, s27
	s_wait_alu 0xfffe
	s_fmamk_f32 s2, s27, 0xcf800000, s2
	s_cvt_u32_f32 s29, s27
	s_wait_alu 0xfffe
	s_delay_alu instid0(SALU_CYCLE_1) | instskip(SKIP_1) | instid1(SALU_CYCLE_2)
	s_cvt_u32_f32 s28, s2
	s_wait_alu 0xfffe
	s_mul_u64 s[34:35], s[30:31], s[28:29]
	s_wait_alu 0xfffe
	s_mul_hi_u32 s37, s28, s35
	s_mul_i32 s36, s28, s35
	s_mul_hi_u32 s2, s28, s34
	s_mul_i32 s33, s29, s34
	s_wait_alu 0xfffe
	s_add_nc_u64 s[36:37], s[2:3], s[36:37]
	s_mul_hi_u32 s27, s29, s34
	s_mul_hi_u32 s38, s29, s35
	s_add_co_u32 s2, s36, s33
	s_wait_alu 0xfffe
	s_add_co_ci_u32 s2, s37, s27
	s_mul_i32 s34, s29, s35
	s_add_co_ci_u32 s35, s38, 0
	s_wait_alu 0xfffe
	s_add_nc_u64 s[34:35], s[2:3], s[34:35]
	s_wait_alu 0xfffe
	v_add_co_u32 v4, s2, s28, s34
	s_delay_alu instid0(VALU_DEP_1) | instskip(SKIP_1) | instid1(VALU_DEP_1)
	s_cmp_lg_u32 s2, 0
	s_add_co_ci_u32 s29, s29, s35
	v_readfirstlane_b32 s28, v4
	s_wait_alu 0xfffe
	s_delay_alu instid0(VALU_DEP_1)
	s_mul_u64 s[30:31], s[30:31], s[28:29]
	s_wait_alu 0xfffe
	s_mul_hi_u32 s35, s28, s31
	s_mul_i32 s34, s28, s31
	s_mul_hi_u32 s2, s28, s30
	s_mul_i32 s33, s29, s30
	s_wait_alu 0xfffe
	s_add_nc_u64 s[34:35], s[2:3], s[34:35]
	s_mul_hi_u32 s27, s29, s30
	s_mul_hi_u32 s28, s29, s31
	s_wait_alu 0xfffe
	s_add_co_u32 s2, s34, s33
	s_add_co_ci_u32 s2, s35, s27
	s_mul_i32 s30, s29, s31
	s_add_co_ci_u32 s31, s28, 0
	s_wait_alu 0xfffe
	s_add_nc_u64 s[30:31], s[2:3], s[30:31]
	s_wait_alu 0xfffe
	v_add_co_u32 v4, s2, v4, s30
	s_delay_alu instid0(VALU_DEP_1) | instskip(SKIP_1) | instid1(VALU_DEP_1)
	s_cmp_lg_u32 s2, 0
	s_add_co_ci_u32 s2, s29, s31
	v_mul_hi_u32 v13, v5, v4
	s_wait_alu 0xfffe
	v_mad_co_u64_u32 v[7:8], null, v5, s2, 0
	v_mad_co_u64_u32 v[9:10], null, v6, v4, 0
	;; [unrolled: 1-line block ×3, first 2 shown]
	s_delay_alu instid0(VALU_DEP_3) | instskip(SKIP_1) | instid1(VALU_DEP_4)
	v_add_co_u32 v4, vcc_lo, v13, v7
	s_wait_alu 0xfffd
	v_add_co_ci_u32_e32 v7, vcc_lo, 0, v8, vcc_lo
	s_delay_alu instid0(VALU_DEP_2) | instskip(SKIP_1) | instid1(VALU_DEP_2)
	v_add_co_u32 v4, vcc_lo, v4, v9
	s_wait_alu 0xfffd
	v_add_co_ci_u32_e32 v4, vcc_lo, v7, v10, vcc_lo
	s_wait_alu 0xfffd
	v_add_co_ci_u32_e32 v7, vcc_lo, 0, v12, vcc_lo
	s_delay_alu instid0(VALU_DEP_2) | instskip(SKIP_1) | instid1(VALU_DEP_2)
	v_add_co_u32 v4, vcc_lo, v4, v11
	s_wait_alu 0xfffd
	v_add_co_ci_u32_e32 v9, vcc_lo, 0, v7, vcc_lo
	s_delay_alu instid0(VALU_DEP_2) | instskip(SKIP_1) | instid1(VALU_DEP_3)
	v_mul_lo_u32 v10, s25, v4
	v_mad_co_u64_u32 v[7:8], null, s24, v4, 0
	v_mul_lo_u32 v11, s24, v9
	s_delay_alu instid0(VALU_DEP_2) | instskip(NEXT) | instid1(VALU_DEP_2)
	v_sub_co_u32 v7, vcc_lo, v5, v7
	v_add3_u32 v8, v8, v11, v10
	s_delay_alu instid0(VALU_DEP_1) | instskip(SKIP_1) | instid1(VALU_DEP_1)
	v_sub_nc_u32_e32 v10, v6, v8
	s_wait_alu 0xfffd
	v_subrev_co_ci_u32_e64 v10, s2, s25, v10, vcc_lo
	v_add_co_u32 v11, s2, v4, 2
	s_wait_alu 0xf1ff
	v_add_co_ci_u32_e64 v12, s2, 0, v9, s2
	v_sub_co_u32 v13, s2, v7, s24
	v_sub_co_ci_u32_e32 v8, vcc_lo, v6, v8, vcc_lo
	s_wait_alu 0xf1ff
	v_subrev_co_ci_u32_e64 v10, s2, 0, v10, s2
	s_delay_alu instid0(VALU_DEP_3) | instskip(NEXT) | instid1(VALU_DEP_3)
	v_cmp_le_u32_e32 vcc_lo, s24, v13
	v_cmp_eq_u32_e64 s2, s25, v8
	s_wait_alu 0xfffd
	v_cndmask_b32_e64 v13, 0, -1, vcc_lo
	v_cmp_le_u32_e32 vcc_lo, s25, v10
	s_wait_alu 0xfffd
	v_cndmask_b32_e64 v14, 0, -1, vcc_lo
	v_cmp_le_u32_e32 vcc_lo, s24, v7
	;; [unrolled: 3-line block ×3, first 2 shown]
	s_wait_alu 0xfffd
	v_cndmask_b32_e64 v15, 0, -1, vcc_lo
	v_cmp_eq_u32_e32 vcc_lo, s25, v10
	s_wait_alu 0xf1ff
	s_delay_alu instid0(VALU_DEP_2)
	v_cndmask_b32_e64 v7, v15, v7, s2
	s_wait_alu 0xfffd
	v_cndmask_b32_e32 v10, v14, v13, vcc_lo
	v_add_co_u32 v13, vcc_lo, v4, 1
	s_wait_alu 0xfffd
	v_add_co_ci_u32_e32 v14, vcc_lo, 0, v9, vcc_lo
	s_delay_alu instid0(VALU_DEP_3) | instskip(SKIP_1) | instid1(VALU_DEP_2)
	v_cmp_ne_u32_e32 vcc_lo, 0, v10
	s_wait_alu 0xfffd
	v_cndmask_b32_e32 v8, v14, v12, vcc_lo
	v_cndmask_b32_e32 v10, v13, v11, vcc_lo
	v_cmp_ne_u32_e32 vcc_lo, 0, v7
	s_wait_alu 0xfffd
	s_delay_alu instid0(VALU_DEP_2)
	v_dual_cndmask_b32 v65, v9, v8 :: v_dual_cndmask_b32 v64, v4, v10
.LBB0_4:                                ;   in Loop: Header=BB0_2 Depth=1
	s_wait_alu 0xfffe
	s_and_not1_saveexec_b32 s2, s26
	s_cbranch_execz .LBB0_6
; %bb.5:                                ;   in Loop: Header=BB0_2 Depth=1
	v_cvt_f32_u32_e32 v4, s24
	s_sub_co_i32 s26, 0, s24
	v_mov_b32_e32 v65, v3
	s_delay_alu instid0(VALU_DEP_2) | instskip(NEXT) | instid1(TRANS32_DEP_1)
	v_rcp_iflag_f32_e32 v4, v4
	v_mul_f32_e32 v4, 0x4f7ffffe, v4
	s_delay_alu instid0(VALU_DEP_1) | instskip(SKIP_1) | instid1(VALU_DEP_1)
	v_cvt_u32_f32_e32 v4, v4
	s_wait_alu 0xfffe
	v_mul_lo_u32 v7, s26, v4
	s_delay_alu instid0(VALU_DEP_1) | instskip(NEXT) | instid1(VALU_DEP_1)
	v_mul_hi_u32 v7, v4, v7
	v_add_nc_u32_e32 v4, v4, v7
	s_delay_alu instid0(VALU_DEP_1) | instskip(NEXT) | instid1(VALU_DEP_1)
	v_mul_hi_u32 v4, v5, v4
	v_mul_lo_u32 v7, v4, s24
	v_add_nc_u32_e32 v8, 1, v4
	s_delay_alu instid0(VALU_DEP_2) | instskip(NEXT) | instid1(VALU_DEP_1)
	v_sub_nc_u32_e32 v7, v5, v7
	v_subrev_nc_u32_e32 v9, s24, v7
	v_cmp_le_u32_e32 vcc_lo, s24, v7
	s_wait_alu 0xfffd
	s_delay_alu instid0(VALU_DEP_2) | instskip(NEXT) | instid1(VALU_DEP_1)
	v_dual_cndmask_b32 v7, v7, v9 :: v_dual_cndmask_b32 v4, v4, v8
	v_cmp_le_u32_e32 vcc_lo, s24, v7
	s_delay_alu instid0(VALU_DEP_2) | instskip(SKIP_1) | instid1(VALU_DEP_1)
	v_add_nc_u32_e32 v8, 1, v4
	s_wait_alu 0xfffd
	v_cndmask_b32_e32 v64, v4, v8, vcc_lo
.LBB0_6:                                ;   in Loop: Header=BB0_2 Depth=1
	s_wait_alu 0xfffe
	s_or_b32 exec_lo, exec_lo, s2
	v_mul_lo_u32 v4, v65, s24
	s_delay_alu instid0(VALU_DEP_2)
	v_mul_lo_u32 v9, v64, s25
	s_load_b64 s[26:27], s[18:19], 0x0
	v_mad_co_u64_u32 v[7:8], null, v64, s24, 0
	s_load_b64 s[24:25], s[16:17], 0x0
	s_add_nc_u64 s[20:21], s[20:21], 1
	s_add_nc_u64 s[16:17], s[16:17], 8
	s_wait_alu 0xfffe
	v_cmp_ge_u64_e64 s2, s[20:21], s[10:11]
	s_add_nc_u64 s[18:19], s[18:19], 8
	s_add_nc_u64 s[22:23], s[22:23], 8
	v_add3_u32 v4, v8, v9, v4
	v_sub_co_u32 v5, vcc_lo, v5, v7
	s_wait_alu 0xfffd
	s_delay_alu instid0(VALU_DEP_2) | instskip(SKIP_2) | instid1(VALU_DEP_1)
	v_sub_co_ci_u32_e32 v4, vcc_lo, v6, v4, vcc_lo
	s_and_b32 vcc_lo, exec_lo, s2
	s_wait_kmcnt 0x0
	v_mul_lo_u32 v6, s26, v4
	v_mul_lo_u32 v7, s27, v5
	v_mad_co_u64_u32 v[1:2], null, s26, v5, v[1:2]
	v_mul_lo_u32 v4, s24, v4
	v_mul_lo_u32 v8, s25, v5
	v_mad_co_u64_u32 v[60:61], null, s24, v5, v[60:61]
	s_delay_alu instid0(VALU_DEP_4) | instskip(NEXT) | instid1(VALU_DEP_2)
	v_add3_u32 v2, v7, v2, v6
	v_add3_u32 v61, v8, v61, v4
	s_wait_alu 0xfffe
	s_cbranch_vccnz .LBB0_9
; %bb.7:                                ;   in Loop: Header=BB0_2 Depth=1
	v_dual_mov_b32 v5, v64 :: v_dual_mov_b32 v6, v65
	s_branch .LBB0_2
.LBB0_8:
	v_dual_mov_b32 v61, v2 :: v_dual_mov_b32 v60, v1
	v_dual_mov_b32 v65, v6 :: v_dual_mov_b32 v64, v5
.LBB0_9:
	s_load_b64 s[0:1], s[0:1], 0x28
	v_mul_hi_u32 v3, 0x4ec4ec5, v0
                                        ; implicit-def: $vgpr62
	s_wait_kmcnt 0x0
	s_delay_alu instid0(VALU_DEP_2) | instskip(SKIP_1) | instid1(VALU_DEP_1)
	v_cmp_gt_u64_e32 vcc_lo, s[0:1], v[64:65]
	v_cmp_le_u64_e64 s0, s[0:1], v[64:65]
	s_and_saveexec_b32 s1, s0
	s_wait_alu 0xfffe
	s_xor_b32 s0, exec_lo, s1
; %bb.10:
	s_delay_alu instid0(VALU_DEP_3) | instskip(NEXT) | instid1(VALU_DEP_1)
	v_mul_u32_u24_e32 v1, 52, v3
                                        ; implicit-def: $vgpr3
	v_sub_nc_u32_e32 v62, v0, v1
                                        ; implicit-def: $vgpr0
                                        ; implicit-def: $vgpr1_vgpr2
; %bb.11:
	s_wait_alu 0xfffe
	s_or_saveexec_b32 s1, s0
	s_lshl_b64 s[42:43], s[10:11], 3
	s_wait_alu 0xfffe
	s_xor_b32 exec_lo, exec_lo, s1
	s_cbranch_execz .LBB0_13
; %bb.12:
	s_add_nc_u64 s[2:3], s[12:13], s[42:43]
	v_lshlrev_b64_e32 v[1:2], 4, v[1:2]
	s_load_b64 s[2:3], s[2:3], 0x0
	s_wait_kmcnt 0x0
	v_mul_lo_u32 v6, s3, v64
	v_mul_lo_u32 v7, s2, v65
	v_mad_co_u64_u32 v[4:5], null, s2, v64, 0
	s_delay_alu instid0(VALU_DEP_1) | instskip(SKIP_1) | instid1(VALU_DEP_2)
	v_add3_u32 v5, v5, v7, v6
	v_mul_u32_u24_e32 v6, 52, v3
	v_lshlrev_b64_e32 v[3:4], 4, v[4:5]
	s_delay_alu instid0(VALU_DEP_2) | instskip(NEXT) | instid1(VALU_DEP_1)
	v_sub_nc_u32_e32 v62, v0, v6
	v_lshlrev_b32_e32 v40, 4, v62
	s_delay_alu instid0(VALU_DEP_3) | instskip(SKIP_1) | instid1(VALU_DEP_4)
	v_add_co_u32 v0, s0, s4, v3
	s_wait_alu 0xf1ff
	v_add_co_ci_u32_e64 v3, s0, s5, v4, s0
	s_delay_alu instid0(VALU_DEP_2) | instskip(SKIP_1) | instid1(VALU_DEP_2)
	v_add_co_u32 v0, s0, v0, v1
	s_wait_alu 0xf1ff
	v_add_co_ci_u32_e64 v1, s0, v3, v2, s0
	s_delay_alu instid0(VALU_DEP_2) | instskip(SKIP_1) | instid1(VALU_DEP_2)
	v_add_co_u32 v36, s0, v0, v40
	s_wait_alu 0xf1ff
	v_add_co_ci_u32_e64 v37, s0, 0, v1, s0
	s_clause 0x9
	global_load_b128 v[0:3], v[36:37], off
	global_load_b128 v[4:7], v[36:37], off offset:832
	global_load_b128 v[8:11], v[36:37], off offset:1664
	;; [unrolled: 1-line block ×9, first 2 shown]
	v_add_nc_u32_e32 v40, 0, v40
	s_wait_loadcnt 0x9
	ds_store_b128 v40, v[0:3]
	s_wait_loadcnt 0x8
	ds_store_b128 v40, v[4:7] offset:832
	s_wait_loadcnt 0x7
	ds_store_b128 v40, v[8:11] offset:1664
	;; [unrolled: 2-line block ×9, first 2 shown]
.LBB0_13:
	s_or_b32 exec_lo, exec_lo, s1
	v_lshl_add_u32 v162, v62, 4, 0
	global_wb scope:SCOPE_SE
	s_wait_dscnt 0x0
	s_barrier_signal -1
	s_barrier_wait -1
	global_inv scope:SCOPE_SE
	ds_load_b128 v[8:11], v162 offset:7680
	ds_load_b128 v[44:47], v162 offset:640
	ds_load_b128 v[20:23], v162
	ds_load_b128 v[12:15], v162 offset:7040
	ds_load_b128 v[48:51], v162 offset:1280
	s_mov_b32 s26, 0x42a4c3d2
	s_mov_b32 s2, 0x1ea71119
	;; [unrolled: 1-line block ×8, first 2 shown]
	ds_load_b128 v[56:59], v162 offset:1920
	ds_load_b128 v[16:19], v162 offset:6400
	s_mov_b32 s24, 0x2ef20147
	s_mov_b32 s16, 0xb2365da1
	;; [unrolled: 1-line block ×8, first 2 shown]
	s_wait_dscnt 0x5
	v_add_f64_e64 v[80:81], v[46:47], -v[10:11]
	v_add_f64_e32 v[66:67], v[46:47], v[10:11]
	s_wait_dscnt 0x2
	v_add_f64_e64 v[154:155], v[50:51], -v[14:15]
	v_add_f64_e32 v[90:91], v[50:51], v[14:15]
	v_add_f64_e32 v[92:93], v[44:45], v[8:9]
	v_add_f64_e64 v[102:103], v[44:45], -v[8:9]
	v_add_f64_e32 v[96:97], v[48:49], v[12:13]
	v_add_f64_e64 v[158:159], v[48:49], -v[12:13]
	ds_load_b128 v[24:27], v162 offset:5760
	ds_load_b128 v[52:55], v162 offset:2560
	s_mov_b32 s41, 0x3fedeba7
	s_wait_alu 0xfffe
	s_mov_b32 s40, s24
	s_wait_dscnt 0x2
	v_add_f64_e64 v[156:157], v[58:59], -v[18:19]
	v_add_f64_e32 v[112:113], v[58:59], v[18:19]
	v_add_f64_e32 v[108:109], v[56:57], v[16:17]
	v_add_f64_e64 v[160:161], v[56:57], -v[16:17]
	ds_load_b128 v[36:39], v162 offset:3200
	ds_load_b128 v[28:31], v162 offset:5120
	s_mov_b32 s38, 0x24c2f84
	s_mov_b32 s18, 0xd0032e0c
	;; [unrolled: 1-line block ×12, first 2 shown]
	s_wait_dscnt 0x2
	v_add_f64_e64 v[94:95], v[54:55], -v[26:27]
	v_add_f64_e32 v[82:83], v[54:55], v[26:27]
	v_add_f64_e32 v[88:89], v[52:53], v[24:25]
	v_add_f64_e64 v[100:101], v[52:53], -v[24:25]
	s_add_nc_u64 s[4:5], s[14:15], s[42:43]
	s_mov_b32 s14, exec_lo
	s_wait_dscnt 0x0
	v_add_f64_e64 v[98:99], v[38:39], -v[30:31]
	v_add_f64_e32 v[70:71], v[38:39], v[30:31]
	v_add_f64_e32 v[84:85], v[36:37], v[28:29]
	v_mul_f64_e32 v[116:117], s[26:27], v[80:81]
	v_mul_f64_e32 v[120:121], s[2:3], v[66:67]
	;; [unrolled: 1-line block ×8, first 2 shown]
	v_add_f64_e64 v[106:107], v[36:37], -v[28:29]
	v_mul_f64_e32 v[124:125], s[22:23], v[156:157]
	v_mul_f64_e32 v[126:127], s[12:13], v[112:113]
	;; [unrolled: 1-line block ×7, first 2 shown]
	s_wait_alu 0xfffe
	v_mul_f64_e32 v[150:151], s[20:21], v[82:83]
	v_mul_f64_e32 v[140:141], s[34:35], v[98:99]
	;; [unrolled: 1-line block ×4, first 2 shown]
	v_fma_f64 v[0:1], v[92:93], s[2:3], -v[116:117]
	v_fma_f64 v[2:3], v[102:103], s[26:27], v[120:121]
	v_fma_f64 v[4:5], v[92:93], s[10:11], -v[142:143]
	v_fma_f64 v[6:7], v[102:103], s[30:31], v[146:147]
	;; [unrolled: 2-line block ×4, first 2 shown]
	v_mul_f64_e32 v[152:153], s[2:3], v[70:71]
	v_fma_f64 v[72:73], v[108:109], s[12:13], -v[124:125]
	v_fma_f64 v[74:75], v[160:161], s[22:23], v[126:127]
	v_fma_f64 v[76:77], v[108:109], s[16:17], -v[130:131]
	v_fma_f64 v[78:79], v[160:161], s[40:41], v[134:135]
	;; [unrolled: 2-line block ×5, first 2 shown]
	v_fma_f64 v[175:176], v[84:85], s[2:3], -v[148:149]
	v_add_f64_e32 v[0:1], v[20:21], v[0:1]
	v_add_f64_e32 v[2:3], v[22:23], v[2:3]
	;; [unrolled: 1-line block ×4, first 2 shown]
	v_fma_f64 v[177:178], v[106:107], s[26:27], v[152:153]
	v_add_f64_e32 v[0:1], v[32:33], v[0:1]
	v_add_f64_e32 v[2:3], v[34:35], v[2:3]
	v_add_f64_e32 v[4:5], v[40:41], v[4:5]
	v_add_f64_e32 v[6:7], v[42:43], v[6:7]
	ds_load_b128 v[40:43], v162 offset:3840
	ds_load_b128 v[32:35], v162 offset:4480
	global_wb scope:SCOPE_SE
	s_wait_dscnt 0x0
	s_barrier_signal -1
	s_barrier_wait -1
	global_inv scope:SCOPE_SE
	v_add_f64_e64 v[104:105], v[42:43], -v[34:35]
	v_add_f64_e32 v[68:69], v[42:43], v[34:35]
	v_add_f64_e64 v[110:111], v[40:41], -v[32:33]
	v_add_f64_e32 v[0:1], v[72:73], v[0:1]
	v_add_f64_e32 v[2:3], v[74:75], v[2:3]
	;; [unrolled: 1-line block ×5, first 2 shown]
	v_mul_f64_e32 v[74:75], s[36:37], v[104:105]
	v_mul_f64_e32 v[76:77], s[20:21], v[68:69]
	;; [unrolled: 1-line block ×4, first 2 shown]
	v_add_f64_e32 v[0:1], v[163:164], v[0:1]
	v_add_f64_e32 v[2:3], v[165:166], v[2:3]
	;; [unrolled: 1-line block ×4, first 2 shown]
	v_fma_f64 v[163:164], v[72:73], s[20:21], -v[74:75]
	v_fma_f64 v[165:166], v[110:111], s[36:37], v[76:77]
	v_fma_f64 v[167:168], v[72:73], s[18:19], -v[78:79]
	v_fma_f64 v[169:170], v[110:111], s[28:29], v[86:87]
	v_add_f64_e32 v[0:1], v[171:172], v[0:1]
	v_add_f64_e32 v[2:3], v[173:174], v[2:3]
	;; [unrolled: 1-line block ×4, first 2 shown]
	s_delay_alu instid0(VALU_DEP_4) | instskip(NEXT) | instid1(VALU_DEP_4)
	v_add_f64_e32 v[4:5], v[163:164], v[0:1]
	v_add_f64_e32 v[6:7], v[165:166], v[2:3]
	s_delay_alu instid0(VALU_DEP_4) | instskip(NEXT) | instid1(VALU_DEP_4)
	v_add_f64_e32 v[0:1], v[167:168], v[171:172]
	v_add_f64_e32 v[2:3], v[169:170], v[173:174]
	v_cmpx_gt_u32_e32 40, v62
	s_cbranch_execz .LBB0_15
; %bb.14:
	v_add_f64_e32 v[44:45], v[20:21], v[44:45]
	v_add_f64_e32 v[46:47], v[22:23], v[46:47]
	v_mul_f64_e32 v[165:166], s[26:27], v[102:103]
	v_mul_f64_e32 v[167:168], s[36:37], v[100:101]
	;; [unrolled: 1-line block ×36, first 2 shown]
	v_add_f64_e32 v[48:49], v[44:45], v[48:49]
	v_add_f64_e32 v[46:47], v[46:47], v[50:51]
	v_mul_f64_e32 v[44:45], s[36:37], v[110:111]
	v_mul_f64_e32 v[50:51], s[30:31], v[102:103]
	v_add_f64_e64 v[120:121], v[120:121], -v[165:166]
	s_mov_b32 s1, 0x3fcea1e5
	s_mov_b32 s0, s22
	v_mul_f64_e32 v[233:234], s[30:31], v[100:101]
	v_mul_f64_e32 v[235:236], s[24:25], v[100:101]
	;; [unrolled: 1-line block ×4, first 2 shown]
	v_add_f64_e64 v[134:135], v[134:135], -v[185:186]
	v_fma_f64 v[185:186], v[66:67], s[12:13], v[169:170]
	v_add_f64_e64 v[128:129], v[128:129], -v[189:190]
	v_fma_f64 v[169:170], v[66:67], s[12:13], -v[169:170]
	v_add_f64_e32 v[148:149], v[193:194], v[148:149]
	v_fma_f64 v[189:190], v[66:67], s[18:19], v[177:178]
	v_fma_f64 v[177:178], v[66:67], s[18:19], -v[177:178]
	v_fma_f64 v[193:194], v[66:67], s[16:17], v[183:184]
	v_add_f64_e32 v[142:143], v[163:164], v[142:143]
	v_add_f64_e32 v[138:139], v[199:200], v[138:139]
	v_fma_f64 v[199:200], v[92:93], s[16:17], -v[197:198]
	v_fma_f64 v[197:198], v[92:93], s[16:17], v[197:198]
	v_add_f64_e32 v[114:115], v[219:220], v[114:115]
	v_add_f64_e32 v[130:131], v[201:202], v[130:131]
	v_fma_f64 v[201:202], v[112:113], s[18:19], v[221:222]
	v_add_f64_e64 v[144:145], v[144:145], -v[205:206]
	v_add_f64_e64 v[136:137], v[136:137], -v[207:208]
	;; [unrolled: 1-line block ×4, first 2 shown]
	v_add_f64_e32 v[140:141], v[213:214], v[140:141]
	v_add_f64_e32 v[132:133], v[215:216], v[132:133]
	v_fma_f64 v[205:206], v[112:113], s[2:3], v[223:224]
	v_fma_f64 v[207:208], v[112:113], s[2:3], -v[223:224]
	v_fma_f64 v[209:210], v[112:113], s[20:21], v[181:182]
	v_fma_f64 v[181:182], v[112:113], s[20:21], -v[181:182]
	v_fma_f64 v[211:212], v[112:113], s[10:11], v[160:161]
	v_fma_f64 v[213:214], v[90:91], s[10:11], v[225:226]
	v_add_f64_e32 v[48:49], v[48:49], v[56:57]
	v_add_f64_e32 v[46:47], v[46:47], v[58:59]
	v_mul_f64_e32 v[56:57], s[2:3], v[92:93]
	v_mul_f64_e32 v[58:59], s[36:37], v[158:159]
	s_mov_b32 s37, 0xbfddbe06
	v_add_f64_e64 v[50:51], v[146:147], -v[50:51]
	s_wait_alu 0xfffe
	v_mul_f64_e32 v[102:103], s[36:37], v[102:103]
	v_mul_f64_e32 v[80:81], s[36:37], v[80:81]
	v_mul_f64_e32 v[158:159], s[26:27], v[158:159]
	v_fma_f64 v[215:216], v[90:91], s[10:11], -v[225:226]
	v_fma_f64 v[223:224], v[96:97], s[20:21], -v[173:174]
	v_fma_f64 v[173:174], v[96:97], s[20:21], v[173:174]
	v_add_f64_e32 v[185:186], v[22:23], v[185:186]
	v_add_f64_e32 v[120:121], v[22:23], v[120:121]
	;; [unrolled: 1-line block ×8, first 2 shown]
	v_fma_f64 v[217:218], v[90:91], s[18:19], v[227:228]
	v_add_f64_e32 v[199:200], v[20:21], v[199:200]
	v_add_f64_e32 v[197:198], v[20:21], v[197:198]
	v_mul_f64_e32 v[146:147], s[24:25], v[94:95]
	v_mul_f64_e32 v[163:164], s[24:25], v[106:107]
	v_fma_f64 v[225:226], v[108:109], s[20:21], -v[187:188]
	v_fma_f64 v[187:188], v[108:109], s[20:21], v[187:188]
	v_add_f64_e64 v[152:153], v[152:153], -v[171:172]
	v_mul_f64_e32 v[171:172], s[28:29], v[98:99]
	v_add_f64_e64 v[150:151], v[150:151], -v[167:168]
	v_mul_f64_e32 v[167:168], s[34:35], v[110:111]
	v_mul_f64_e32 v[106:107], s[0:1], v[106:107]
	v_add_f64_e64 v[44:45], v[76:77], -v[44:45]
	v_add_f64_e32 v[48:49], v[48:49], v[52:53]
	v_add_f64_e32 v[46:47], v[46:47], v[54:55]
	v_mul_f64_e32 v[52:53], s[26:27], v[156:157]
	v_mul_f64_e32 v[54:55], s[30:31], v[156:157]
	;; [unrolled: 1-line block ×3, first 2 shown]
	v_add_f64_e32 v[56:57], v[56:57], v[116:117]
	v_fma_f64 v[219:220], v[66:67], s[20:21], v[102:103]
	v_mul_f64_e32 v[154:155], s[26:27], v[154:155]
	v_add_f64_e32 v[50:51], v[22:23], v[50:51]
	s_mov_b32 s27, 0x3fea55e2
	v_mul_f64_e32 v[116:117], s[24:25], v[98:99]
	v_mul_f64_e32 v[98:99], s[0:1], v[98:99]
	v_add_f64_e32 v[189:190], v[213:214], v[189:190]
	v_add_f64_e32 v[177:178], v[215:216], v[177:178]
	v_fma_f64 v[215:216], v[82:83], s[10:11], v[233:234]
	v_fma_f64 v[233:234], v[82:83], s[10:11], -v[233:234]
	v_mul_f64_e32 v[213:214], s[22:23], v[104:105]
	v_add_f64_e32 v[36:37], v[48:49], v[36:37]
	v_add_f64_e32 v[38:39], v[46:47], v[38:39]
	v_fma_f64 v[46:47], v[66:67], s[16:17], -v[183:184]
	v_add_f64_e32 v[48:49], v[203:204], v[122:123]
	v_fma_f64 v[122:123], v[92:93], s[12:13], -v[191:192]
	v_fma_f64 v[183:184], v[92:93], s[12:13], v[191:192]
	v_fma_f64 v[191:192], v[92:93], s[18:19], -v[195:196]
	v_fma_f64 v[195:196], v[92:93], s[18:19], v[195:196]
	v_fma_f64 v[66:67], v[66:67], s[20:21], -v[102:103]
	v_fma_f64 v[203:204], v[112:113], s[18:19], -v[221:222]
	;; [unrolled: 1-line block ×3, first 2 shown]
	v_fma_f64 v[80:81], v[92:93], s[20:21], v[80:81]
	v_fma_f64 v[112:113], v[112:113], s[10:11], -v[160:161]
	v_fma_f64 v[160:161], v[90:91], s[20:21], v[58:59]
	v_fma_f64 v[58:59], v[90:91], s[20:21], -v[58:59]
	v_fma_f64 v[92:93], v[90:91], s[18:19], -v[227:228]
	v_add_f64_e32 v[56:57], v[20:21], v[56:57]
	v_add_f64_e32 v[219:220], v[22:23], v[219:220]
	v_fma_f64 v[102:103], v[90:91], s[2:3], v[158:159]
	v_fma_f64 v[90:91], v[90:91], s[2:3], -v[158:159]
	v_fma_f64 v[158:159], v[108:109], s[2:3], -v[52:53]
	v_fma_f64 v[52:53], v[108:109], s[2:3], v[52:53]
	v_add_f64_e32 v[50:51], v[128:129], v[50:51]
	v_fma_f64 v[227:228], v[108:109], s[10:11], -v[54:55]
	v_fma_f64 v[54:55], v[108:109], s[10:11], v[54:55]
	v_fma_f64 v[128:129], v[70:71], s[16:17], -v[163:164]
	v_add_f64_e32 v[36:37], v[36:37], v[40:41]
	v_add_f64_e32 v[38:39], v[38:39], v[42:43]
	v_fma_f64 v[40:41], v[108:109], s[18:19], -v[229:230]
	v_fma_f64 v[42:43], v[108:109], s[18:19], v[229:230]
	v_add_f64_e32 v[122:123], v[20:21], v[122:123]
	v_add_f64_e32 v[183:184], v[20:21], v[183:184]
	v_fma_f64 v[229:230], v[96:97], s[10:11], -v[156:157]
	v_add_f64_e32 v[191:192], v[20:21], v[191:192]
	v_fma_f64 v[156:157], v[96:97], s[10:11], v[156:157]
	v_add_f64_e32 v[195:196], v[20:21], v[195:196]
	v_add_f64_e32 v[46:47], v[22:23], v[46:47]
	;; [unrolled: 1-line block ×3, first 2 shown]
	v_fma_f64 v[66:67], v[96:97], s[18:19], v[231:232]
	v_fma_f64 v[231:232], v[96:97], s[18:19], -v[231:232]
	v_add_f64_e32 v[221:222], v[20:21], v[221:222]
	v_add_f64_e32 v[20:21], v[20:21], v[80:81]
	;; [unrolled: 1-line block ×8, first 2 shown]
	v_fma_f64 v[142:143], v[70:71], s[20:21], v[175:176]
	v_add_f64_e32 v[50:51], v[134:135], v[50:51]
	v_mul_f64_e32 v[80:81], s[20:21], v[72:73]
	v_fma_f64 v[134:135], v[68:69], s[10:11], v[167:168]
	v_mul_f64_e32 v[185:186], s[28:29], v[110:111]
	v_mul_f64_e32 v[108:109], s[34:35], v[104:105]
	;; [unrolled: 1-line block ×3, first 2 shown]
	v_add_f64_e32 v[32:33], v[36:37], v[32:33]
	v_fma_f64 v[36:37], v[96:97], s[2:3], v[154:155]
	v_add_f64_e32 v[34:35], v[38:39], v[34:35]
	v_fma_f64 v[96:97], v[96:97], s[2:3], -v[154:155]
	v_add_f64_e32 v[122:123], v[223:224], v[122:123]
	v_add_f64_e32 v[173:174], v[173:174], v[183:184]
	s_wait_alu 0xfffe
	v_mul_f64_e32 v[183:184], s[26:27], v[100:101]
	v_mul_f64_e32 v[100:101], s[0:1], v[100:101]
	v_add_f64_e32 v[191:192], v[229:230], v[191:192]
	v_mul_f64_e32 v[229:230], s[26:27], v[94:95]
	v_mul_f64_e32 v[94:95], s[0:1], v[94:95]
	v_add_f64_e32 v[156:157], v[156:157], v[195:196]
	v_add_f64_e32 v[46:47], v[92:93], v[46:47]
	v_add_f64_e32 v[92:93], v[118:119], v[120:121]
	v_add_f64_e32 v[66:67], v[66:67], v[197:198]
	v_add_f64_e32 v[118:119], v[231:232], v[199:200]
	v_add_f64_e32 v[22:23], v[90:91], v[22:23]
	v_fma_f64 v[195:196], v[82:83], s[16:17], v[235:236]
	v_fma_f64 v[235:236], v[82:83], s[16:17], -v[235:236]
	v_fma_f64 v[90:91], v[88:89], s[16:17], -v[146:147]
	v_fma_f64 v[120:121], v[70:71], s[16:17], v[163:164]
	v_add_f64_e32 v[58:59], v[203:204], v[58:59]
	v_add_f64_e32 v[56:57], v[124:125], v[56:57]
	;; [unrolled: 1-line block ×5, first 2 shown]
	v_mul_f64_e32 v[38:39], s[24:25], v[110:111]
	v_fma_f64 v[124:125], v[84:85], s[20:21], v[179:180]
	v_fma_f64 v[130:131], v[84:85], s[18:19], v[171:172]
	v_mul_f64_e32 v[223:224], s[18:19], v[72:73]
	v_add_f64_e32 v[50:51], v[150:151], v[50:51]
	v_mul_f64_e32 v[154:155], s[24:25], v[104:105]
	v_mul_f64_e32 v[110:111], s[26:27], v[110:111]
	;; [unrolled: 1-line block ×3, first 2 shown]
	v_add_f64_e32 v[74:75], v[80:81], v[74:75]
	v_add_f64_e64 v[86:87], v[86:87], -v[185:186]
	v_fma_f64 v[76:77], v[68:69], s[12:13], v[169:170]
	v_fma_f64 v[80:81], v[72:73], s[12:13], -v[213:214]
	v_add_f64_e32 v[28:29], v[32:33], v[28:29]
	v_add_f64_e32 v[20:21], v[36:37], v[20:21]
	;; [unrolled: 1-line block ×4, first 2 shown]
	v_fma_f64 v[34:35], v[88:89], s[10:11], -v[237:238]
	v_fma_f64 v[36:37], v[88:89], s[10:11], v[237:238]
	v_fma_f64 v[96:97], v[88:89], s[16:17], v[146:147]
	v_fma_f64 v[146:147], v[70:71], s[20:21], -v[175:176]
	v_fma_f64 v[163:164], v[82:83], s[2:3], v[183:184]
	v_fma_f64 v[175:176], v[82:83], s[2:3], -v[183:184]
	;; [unrolled: 2-line block ×3, first 2 shown]
	v_fma_f64 v[100:101], v[88:89], s[2:3], -v[229:230]
	v_fma_f64 v[193:194], v[88:89], s[2:3], v[229:230]
	v_fma_f64 v[197:198], v[88:89], s[12:13], -v[94:95]
	v_fma_f64 v[88:89], v[88:89], s[12:13], v[94:95]
	v_add_f64_e32 v[94:95], v[201:202], v[160:161]
	v_add_f64_e32 v[40:41], v[40:41], v[122:123]
	;; [unrolled: 1-line block ×12, first 2 shown]
	v_fma_f64 v[112:113], v[84:85], s[16:17], v[116:117]
	v_fma_f64 v[126:127], v[84:85], s[18:19], -v[171:172]
	v_add_f64_e32 v[56:57], v[132:133], v[56:57]
	v_add_f64_e32 v[48:49], v[138:139], v[48:49]
	;; [unrolled: 1-line block ×4, first 2 shown]
	v_fma_f64 v[156:157], v[72:73], s[10:11], -v[108:109]
	v_fma_f64 v[108:109], v[72:73], s[10:11], v[108:109]
	v_add_f64_e32 v[24:25], v[28:29], v[24:25]
	v_add_f64_e32 v[20:21], v[54:55], v[20:21]
	;; [unrolled: 1-line block ×4, first 2 shown]
	v_fma_f64 v[30:31], v[70:71], s[18:19], v[165:166]
	v_fma_f64 v[32:33], v[70:71], s[18:19], -v[165:166]
	v_fma_f64 v[54:55], v[84:85], s[16:17], -v[116:117]
	;; [unrolled: 1-line block ×4, first 2 shown]
	v_fma_f64 v[167:168], v[70:71], s[12:13], v[106:107]
	v_fma_f64 v[70:71], v[70:71], s[12:13], -v[106:107]
	v_fma_f64 v[106:107], v[84:85], s[12:13], -v[98:99]
	v_fma_f64 v[84:85], v[84:85], s[12:13], v[98:99]
	v_add_f64_e32 v[58:59], v[175:176], v[58:59]
	v_add_f64_e32 v[94:95], v[163:164], v[94:95]
	;; [unrolled: 1-line block ×17, first 2 shown]
	v_fma_f64 v[102:103], v[72:73], s[12:13], v[213:214]
	v_fma_f64 v[114:115], v[68:69], s[2:3], v[110:111]
	v_fma_f64 v[118:119], v[72:73], s[2:3], -v[104:105]
	v_add_f64_e32 v[16:17], v[24:25], v[16:17]
	v_add_f64_e32 v[20:21], v[96:97], v[20:21]
	;; [unrolled: 1-line block ×4, first 2 shown]
	v_fma_f64 v[26:27], v[68:69], s[16:17], v[38:39]
	v_fma_f64 v[38:39], v[68:69], s[16:17], -v[38:39]
	v_fma_f64 v[28:29], v[72:73], s[16:17], -v[154:155]
	v_fma_f64 v[90:91], v[72:73], s[16:17], v[154:155]
	v_fma_f64 v[96:97], v[68:69], s[12:13], -v[169:170]
	v_fma_f64 v[68:69], v[68:69], s[2:3], -v[110:111]
	v_fma_f64 v[72:73], v[72:73], s[2:3], v[104:105]
	v_add_f64_e32 v[94:95], v[120:121], v[94:95]
	v_add_f64_e32 v[40:41], v[54:55], v[40:41]
	;; [unrolled: 1-line block ×37, first 2 shown]
	v_mad_u32_u24 v52, 0xc0, v62, v162
	v_add_f64_e32 v[8:9], v[110:111], v[8:9]
	v_add_f64_e32 v[48:49], v[102:103], v[104:105]
	v_add_f64_e32 v[10:11], v[106:107], v[10:11]
	v_add_f64_e32 v[44:45], v[80:81], v[112:113]
	ds_store_b128 v52, v[0:3] offset:160
	ds_store_b128 v52, v[4:7] offset:176
	;; [unrolled: 1-line block ×11, first 2 shown]
	ds_store_b128 v52, v[8:11]
	ds_store_b128 v52, v[44:47] offset:192
.LBB0_15:
	s_or_b32 exec_lo, exec_lo, s14
	v_and_b32_e32 v8, 0xff, v62
	s_load_b64 s[2:3], s[4:5], 0x0
	global_wb scope:SCOPE_SE
	s_wait_dscnt 0x0
	s_wait_kmcnt 0x0
	s_barrier_signal -1
	s_barrier_wait -1
	v_mul_lo_u16 v8, 0x4f, v8
	global_inv scope:SCOPE_SE
	s_mov_b32 s10, 0x134454ff
	s_mov_b32 s11, 0xbfee6f0e
	;; [unrolled: 1-line block ×3, first 2 shown]
	v_lshrrev_b16 v16, 10, v8
	s_wait_alu 0xfffe
	s_mov_b32 s0, s10
	s_mov_b32 s14, 0x4755a5e
	;; [unrolled: 1-line block ×4, first 2 shown]
	v_mul_lo_u16 v8, v16, 13
	s_mov_b32 s4, s14
	s_mov_b32 s12, 0x372fe950
	;; [unrolled: 1-line block ×4, first 2 shown]
	v_sub_nc_u16 v8, v62, v8
	s_mov_b32 s17, 0x3fe9e377
	s_mov_b32 s19, 0xbfd3c6ef
	s_wait_alu 0xfffe
	s_mov_b32 s18, s12
	s_mov_b32 s21, 0xbfe9e377
	v_and_b32_e32 v17, 0xff, v8
	s_mov_b32 s20, s16
	v_and_b32_e32 v16, 0xffff, v16
	s_delay_alu instid0(VALU_DEP_2) | instskip(SKIP_1) | instid1(VALU_DEP_3)
	v_mul_u32_u24_e32 v8, 9, v17
	v_lshlrev_b32_e32 v17, 4, v17
	v_mul_u32_u24_e32 v16, 0x820, v16
	s_delay_alu instid0(VALU_DEP_3)
	v_lshlrev_b32_e32 v42, 4, v8
	s_clause 0x8
	global_load_b128 v[8:11], v42, s[8:9] offset:32
	global_load_b128 v[12:15], v42, s[8:9] offset:64
	;; [unrolled: 1-line block ×4, first 2 shown]
	global_load_b128 v[26:29], v42, s[8:9]
	global_load_b128 v[30:33], v42, s[8:9] offset:16
	global_load_b128 v[34:37], v42, s[8:9] offset:48
	;; [unrolled: 1-line block ×4, first 2 shown]
	ds_load_b128 v[46:49], v162 offset:2496
	ds_load_b128 v[50:53], v162 offset:4160
	;; [unrolled: 1-line block ×6, first 2 shown]
	v_add3_u32 v16, 0, v16, v17
	s_wait_loadcnt_dscnt 0x805
	v_mul_f64_e32 v[58:59], v[46:47], v[10:11]
	s_wait_loadcnt_dscnt 0x704
	v_mul_f64_e32 v[78:79], v[50:51], v[14:15]
	;; [unrolled: 2-line block ×5, first 2 shown]
	v_mul_f64_e32 v[10:11], v[48:49], v[10:11]
	v_mul_f64_e32 v[14:15], v[52:53], v[14:15]
	;; [unrolled: 1-line block ×4, first 2 shown]
	s_wait_loadcnt_dscnt 0x300
	v_mul_f64_e32 v[90:91], v[76:77], v[32:33]
	v_mul_f64_e32 v[32:33], v[74:75], v[32:33]
	;; [unrolled: 1-line block ×3, first 2 shown]
	v_fma_f64 v[48:49], v[48:49], v[8:9], -v[58:59]
	v_fma_f64 v[52:53], v[52:53], v[12:13], -v[78:79]
	;; [unrolled: 1-line block ×4, first 2 shown]
	ds_load_b128 v[56:59], v162 offset:3328
	ds_load_b128 v[78:81], v162 offset:4992
	;; [unrolled: 1-line block ×3, first 2 shown]
	v_fma_f64 v[46:47], v[46:47], v[8:9], v[10:11]
	v_fma_f64 v[12:13], v[50:51], v[12:13], v[14:15]
	;; [unrolled: 1-line block ×4, first 2 shown]
	v_fma_f64 v[20:21], v[72:73], v[26:27], -v[86:87]
	v_fma_f64 v[22:23], v[74:75], v[30:31], v[90:91]
	v_fma_f64 v[24:25], v[76:77], v[30:31], -v[32:33]
	v_fma_f64 v[26:27], v[70:71], v[26:27], v[28:29]
	s_wait_loadcnt_dscnt 0x202
	v_mul_f64_e32 v[92:93], v[58:59], v[36:37]
	v_mul_f64_e32 v[36:37], v[56:57], v[36:37]
	s_wait_loadcnt_dscnt 0x101
	v_mul_f64_e32 v[94:95], v[80:81], v[40:41]
	s_wait_loadcnt_dscnt 0x0
	v_mul_f64_e32 v[96:97], v[84:85], v[44:45]
	v_mul_f64_e32 v[40:41], v[78:79], v[40:41]
	;; [unrolled: 1-line block ×3, first 2 shown]
	v_add_f64_e64 v[76:77], v[48:49], -v[52:53]
	v_add_f64_e32 v[8:9], v[52:53], v[88:89]
	v_add_f64_e32 v[10:11], v[48:49], v[68:69]
	v_add_f64_e64 v[74:75], v[48:49], -v[68:69]
	v_add_f64_e64 v[100:101], v[46:47], -v[12:13]
	v_add_f64_e32 v[28:29], v[12:13], v[14:15]
	v_add_f64_e64 v[50:51], v[12:13], -v[14:15]
	v_add_f64_e64 v[102:103], v[18:19], -v[14:15]
	;; [unrolled: 1-line block ×3, first 2 shown]
	v_fma_f64 v[30:31], v[56:57], v[34:35], v[92:93]
	v_fma_f64 v[32:33], v[58:59], v[34:35], -v[36:37]
	v_fma_f64 v[34:35], v[78:79], v[38:39], v[94:95]
	v_fma_f64 v[36:37], v[82:83], v[42:43], v[96:97]
	v_fma_f64 v[38:39], v[80:81], v[38:39], -v[40:41]
	v_fma_f64 v[40:41], v[84:85], v[42:43], -v[44:45]
	v_add_f64_e32 v[42:43], v[46:47], v[18:19]
	v_add_f64_e64 v[44:45], v[46:47], -v[18:19]
	v_add_f64_e64 v[78:79], v[68:69], -v[88:89]
	;; [unrolled: 1-line block ×5, first 2 shown]
	v_fma_f64 v[54:55], v[8:9], -0.5, v[20:21]
	v_fma_f64 v[56:57], v[10:11], -0.5, v[20:21]
	ds_load_b128 v[8:11], v162
	v_add_f64_e32 v[20:21], v[20:21], v[48:49]
	global_wb scope:SCOPE_SE
	s_wait_dscnt 0x0
	v_fma_f64 v[28:29], v[28:29], -0.5, v[26:27]
	s_barrier_signal -1
	s_barrier_wait -1
	global_inv scope:SCOPE_SE
	v_add_f64_e64 v[106:107], v[24:25], -v[32:33]
	v_add_f64_e32 v[58:59], v[30:31], v[34:35]
	v_add_f64_e32 v[66:67], v[22:23], v[36:37]
	;; [unrolled: 1-line block ×4, first 2 shown]
	v_fma_f64 v[42:43], v[42:43], -0.5, v[26:27]
	v_add_f64_e32 v[92:93], v[8:9], v[22:23]
	v_add_f64_e32 v[98:99], v[10:11], v[24:25]
	;; [unrolled: 1-line block ×3, first 2 shown]
	v_add_f64_e64 v[94:95], v[24:25], -v[40:41]
	v_add_f64_e64 v[46:47], v[12:13], -v[46:47]
	;; [unrolled: 1-line block ×6, first 2 shown]
	v_fma_f64 v[86:87], v[44:45], s[0:1], v[54:55]
	v_fma_f64 v[90:91], v[50:51], s[10:11], v[56:57]
	;; [unrolled: 1-line block ×4, first 2 shown]
	v_add_f64_e32 v[20:21], v[20:21], v[52:53]
	v_fma_f64 v[48:49], v[58:59], -0.5, v[8:9]
	v_add_f64_e64 v[58:59], v[22:23], -v[36:37]
	v_fma_f64 v[8:9], v[66:67], -0.5, v[8:9]
	v_add_f64_e64 v[66:67], v[30:31], -v[34:35]
	v_fma_f64 v[70:71], v[70:71], -0.5, v[10:11]
	v_fma_f64 v[10:11], v[72:73], -0.5, v[10:11]
	v_add_f64_e32 v[72:73], v[76:77], v[78:79]
	v_add_f64_e32 v[76:77], v[80:81], v[82:83]
	v_fma_f64 v[78:79], v[74:75], s[10:11], v[28:29]
	v_fma_f64 v[28:29], v[74:75], s[0:1], v[28:29]
	v_fma_f64 v[80:81], v[84:85], s[0:1], v[42:43]
	v_fma_f64 v[42:43], v[84:85], s[10:11], v[42:43]
	v_add_f64_e32 v[32:33], v[98:99], v[32:33]
	v_add_f64_e32 v[12:13], v[26:27], v[12:13]
	;; [unrolled: 1-line block ×4, first 2 shown]
	v_fma_f64 v[82:83], v[50:51], s[4:5], v[86:87]
	v_fma_f64 v[86:87], v[44:45], s[4:5], v[90:91]
	;; [unrolled: 1-line block ×4, first 2 shown]
	v_add_f64_e64 v[54:55], v[22:23], -v[30:31]
	v_add_f64_e64 v[22:23], v[30:31], -v[22:23]
	v_add_f64_e32 v[30:31], v[92:93], v[30:31]
	v_add_f64_e64 v[56:57], v[36:37], -v[34:35]
	v_add_f64_e64 v[90:91], v[34:35], -v[36:37]
	v_add_f64_e32 v[24:25], v[24:25], v[110:111]
	v_fma_f64 v[52:53], v[94:95], s[10:11], v[48:49]
	v_fma_f64 v[48:49], v[94:95], s[0:1], v[48:49]
	;; [unrolled: 1-line block ×12, first 2 shown]
	v_add_f64_e32 v[32:33], v[32:33], v[38:39]
	v_add_f64_e32 v[12:13], v[12:13], v[14:15]
	;; [unrolled: 1-line block ×3, first 2 shown]
	v_fma_f64 v[74:75], v[72:73], s[12:13], v[82:83]
	v_fma_f64 v[82:83], v[76:77], s[12:13], v[86:87]
	;; [unrolled: 1-line block ×4, first 2 shown]
	v_add_f64_e32 v[30:31], v[30:31], v[34:35]
	v_add_f64_e32 v[54:55], v[54:55], v[56:57]
	;; [unrolled: 1-line block ×4, first 2 shown]
	v_fma_f64 v[20:21], v[96:97], s[14:15], v[52:53]
	v_fma_f64 v[34:35], v[96:97], s[4:5], v[48:49]
	;; [unrolled: 1-line block ×12, first 2 shown]
	v_add_f64_e32 v[32:33], v[32:33], v[40:41]
	v_add_f64_e32 v[12:13], v[12:13], v[18:19]
	;; [unrolled: 1-line block ×3, first 2 shown]
	v_mul_f64_e32 v[46:47], s[14:15], v[74:75]
	v_mul_f64_e32 v[74:75], s[16:17], v[74:75]
	;; [unrolled: 1-line block ×6, first 2 shown]
	s_wait_alu 0xfffe
	v_mul_f64_e32 v[44:45], s[18:19], v[44:45]
	v_mul_f64_e32 v[50:51], s[20:21], v[50:51]
	v_add_f64_e32 v[30:31], v[30:31], v[36:37]
	v_fma_f64 v[68:69], v[54:55], s[12:13], v[20:21]
	v_fma_f64 v[54:55], v[54:55], s[12:13], v[34:35]
	;; [unrolled: 1-line block ×8, first 2 shown]
	v_add_f64_e32 v[20:21], v[32:33], v[14:15]
	v_add_f64_e64 v[24:25], v[32:33], -v[14:15]
	v_fma_f64 v[46:47], v[58:59], s[16:17], v[46:47]
	v_fma_f64 v[58:59], v[58:59], s[4:5], v[74:75]
	;; [unrolled: 1-line block ×8, first 2 shown]
	v_add_f64_e32 v[18:19], v[30:31], v[12:13]
	v_add_f64_e64 v[22:23], v[30:31], -v[12:13]
	v_cmp_gt_u32_e64 s0, 26, v62
	v_add_f64_e32 v[26:27], v[68:69], v[46:47]
	v_add_f64_e32 v[28:29], v[48:49], v[58:59]
	;; [unrolled: 1-line block ×8, first 2 shown]
	v_add_f64_e64 v[42:43], v[68:69], -v[46:47]
	v_add_f64_e64 v[44:45], v[48:49], -v[58:59]
	;; [unrolled: 1-line block ×8, first 2 shown]
	ds_store_b128 v16, v[18:21]
	ds_store_b128 v16, v[26:29] offset:208
	ds_store_b128 v16, v[30:33] offset:416
	;; [unrolled: 1-line block ×9, first 2 shown]
	global_wb scope:SCOPE_SE
	s_wait_dscnt 0x0
	s_barrier_signal -1
	s_barrier_wait -1
	global_inv scope:SCOPE_SE
	ds_load_b128 v[16:19], v162
	ds_load_b128 v[20:23], v162 offset:832
	ds_load_b128 v[36:39], v162 offset:2080
	;; [unrolled: 1-line block ×7, first 2 shown]
	s_and_saveexec_b32 s1, s0
	s_cbranch_execz .LBB0_17
; %bb.16:
	ds_load_b128 v[8:11], v162 offset:1664
	ds_load_b128 v[12:15], v162 offset:3744
	ds_load_b128 v[0:3], v162 offset:5824
	ds_load_b128 v[4:7], v162 offset:7904
.LBB0_17:
	s_wait_alu 0xfffe
	s_or_b32 exec_lo, exec_lo, s1
	v_mul_u32_u24_e32 v48, 3, v62
	s_delay_alu instid0(VALU_DEP_1)
	v_lshlrev_b32_e32 v63, 4, v48
	s_clause 0x5
	global_load_b128 v[48:51], v63, s[8:9] offset:1872
	global_load_b128 v[52:55], v63, s[8:9] offset:1888
	;; [unrolled: 1-line block ×6, first 2 shown]
	global_wb scope:SCOPE_SE
	s_wait_loadcnt_dscnt 0x0
	s_barrier_signal -1
	s_barrier_wait -1
	global_inv scope:SCOPE_SE
	v_mul_f64_e32 v[78:79], v[38:39], v[50:51]
	v_mul_f64_e32 v[50:51], v[36:37], v[50:51]
	;; [unrolled: 1-line block ×12, first 2 shown]
	v_fma_f64 v[36:37], v[36:37], v[48:49], v[78:79]
	v_fma_f64 v[38:39], v[38:39], v[48:49], -v[50:51]
	v_fma_f64 v[40:41], v[40:41], v[52:53], v[80:81]
	v_fma_f64 v[42:43], v[42:43], v[52:53], -v[54:55]
	;; [unrolled: 2-line block ×6, first 2 shown]
	v_add_f64_e64 v[40:41], v[16:17], -v[40:41]
	v_add_f64_e64 v[42:43], v[18:19], -v[42:43]
	;; [unrolled: 1-line block ×8, first 2 shown]
	v_fma_f64 v[52:53], v[16:17], 2.0, -v[40:41]
	v_fma_f64 v[54:55], v[18:19], 2.0, -v[42:43]
	;; [unrolled: 1-line block ×4, first 2 shown]
	v_add_f64_e32 v[16:17], v[40:41], v[46:47]
	v_add_f64_e64 v[18:19], v[42:43], -v[44:45]
	v_fma_f64 v[56:57], v[20:21], 2.0, -v[48:49]
	v_fma_f64 v[58:59], v[22:23], 2.0, -v[50:51]
	;; [unrolled: 1-line block ×4, first 2 shown]
	v_add_f64_e32 v[20:21], v[48:49], v[30:31]
	v_add_f64_e64 v[22:23], v[50:51], -v[28:29]
	v_add_f64_e64 v[24:25], v[52:53], -v[32:33]
	;; [unrolled: 1-line block ×3, first 2 shown]
	v_fma_f64 v[32:33], v[40:41], 2.0, -v[16:17]
	v_fma_f64 v[34:35], v[42:43], 2.0, -v[18:19]
	v_add_f64_e64 v[28:29], v[56:57], -v[36:37]
	v_add_f64_e64 v[30:31], v[58:59], -v[38:39]
	v_fma_f64 v[36:37], v[48:49], 2.0, -v[20:21]
	v_fma_f64 v[38:39], v[50:51], 2.0, -v[22:23]
	;; [unrolled: 1-line block ×6, first 2 shown]
	ds_store_b128 v162, v[32:35] offset:2080
	ds_store_b128 v162, v[36:39] offset:2912
	;; [unrolled: 1-line block ×4, first 2 shown]
	ds_store_b128 v162, v[40:43]
	ds_store_b128 v162, v[44:47] offset:832
	ds_store_b128 v162, v[16:19] offset:6240
	;; [unrolled: 1-line block ×3, first 2 shown]
	s_and_saveexec_b32 s1, s0
	s_cbranch_execz .LBB0_19
; %bb.18:
	v_add_nc_u32_e32 v16, 0x68, v62
	v_subrev_nc_u32_e32 v17, 26, v62
	s_delay_alu instid0(VALU_DEP_1) | instskip(SKIP_1) | instid1(VALU_DEP_2)
	v_cndmask_b32_e64 v16, v17, v16, s0
	v_mov_b32_e32 v17, 0
	v_mul_i32_i24_e32 v16, 3, v16
	s_delay_alu instid0(VALU_DEP_1) | instskip(NEXT) | instid1(VALU_DEP_1)
	v_lshlrev_b64_e32 v[16:17], 4, v[16:17]
	v_add_co_u32 v24, s0, s8, v16
	s_wait_alu 0xf1ff
	s_delay_alu instid0(VALU_DEP_2)
	v_add_co_ci_u32_e64 v25, s0, s9, v17, s0
	s_clause 0x2
	global_load_b128 v[16:19], v[24:25], off offset:1888
	global_load_b128 v[20:23], v[24:25], off offset:1872
	;; [unrolled: 1-line block ×3, first 2 shown]
	s_wait_loadcnt 0x2
	v_mul_f64_e32 v[28:29], v[0:1], v[18:19]
	s_wait_loadcnt 0x1
	v_mul_f64_e32 v[30:31], v[14:15], v[22:23]
	v_mul_f64_e32 v[22:23], v[12:13], v[22:23]
	s_wait_loadcnt 0x0
	v_mul_f64_e32 v[32:33], v[4:5], v[26:27]
	v_mul_f64_e32 v[18:19], v[2:3], v[18:19]
	;; [unrolled: 1-line block ×3, first 2 shown]
	v_fma_f64 v[2:3], v[2:3], v[16:17], -v[28:29]
	v_fma_f64 v[12:13], v[12:13], v[20:21], v[30:31]
	v_fma_f64 v[14:15], v[14:15], v[20:21], -v[22:23]
	v_fma_f64 v[6:7], v[6:7], v[24:25], -v[32:33]
	v_fma_f64 v[0:1], v[0:1], v[16:17], v[18:19]
	v_fma_f64 v[4:5], v[4:5], v[24:25], v[26:27]
	v_add_f64_e64 v[16:17], v[10:11], -v[2:3]
	s_delay_alu instid0(VALU_DEP_4) | instskip(NEXT) | instid1(VALU_DEP_4)
	v_add_f64_e64 v[18:19], v[14:15], -v[6:7]
	v_add_f64_e64 v[20:21], v[8:9], -v[0:1]
	s_delay_alu instid0(VALU_DEP_4) | instskip(NEXT) | instid1(VALU_DEP_4)
	v_add_f64_e64 v[0:1], v[12:13], -v[4:5]
	v_fma_f64 v[22:23], v[10:11], 2.0, -v[16:17]
	s_delay_alu instid0(VALU_DEP_4) | instskip(NEXT) | instid1(VALU_DEP_4)
	v_fma_f64 v[4:5], v[14:15], 2.0, -v[18:19]
	v_fma_f64 v[8:9], v[8:9], 2.0, -v[20:21]
	s_delay_alu instid0(VALU_DEP_4) | instskip(SKIP_3) | instid1(VALU_DEP_4)
	v_fma_f64 v[10:11], v[12:13], 2.0, -v[0:1]
	v_add_f64_e64 v[2:3], v[16:17], -v[0:1]
	v_add_f64_e32 v[0:1], v[20:21], v[18:19]
	v_add_f64_e64 v[6:7], v[22:23], -v[4:5]
	v_add_f64_e64 v[4:5], v[8:9], -v[10:11]
	s_delay_alu instid0(VALU_DEP_4) | instskip(NEXT) | instid1(VALU_DEP_3)
	v_fma_f64 v[10:11], v[16:17], 2.0, -v[2:3]
	v_fma_f64 v[14:15], v[22:23], 2.0, -v[6:7]
	s_delay_alu instid0(VALU_DEP_3)
	v_fma_f64 v[12:13], v[8:9], 2.0, -v[4:5]
	v_fma_f64 v[8:9], v[20:21], 2.0, -v[0:1]
	ds_store_b128 v162, v[12:15] offset:1664
	ds_store_b128 v162, v[8:11] offset:3744
	;; [unrolled: 1-line block ×4, first 2 shown]
.LBB0_19:
	s_wait_alu 0xfffe
	s_or_b32 exec_lo, exec_lo, s1
	global_wb scope:SCOPE_SE
	s_wait_dscnt 0x0
	s_barrier_signal -1
	s_barrier_wait -1
	global_inv scope:SCOPE_SE
	ds_load_b128 v[0:3], v162
	v_lshlrev_b32_e32 v4, 4, v62
	s_mov_b32 s1, exec_lo
                                        ; implicit-def: $vgpr6_vgpr7
                                        ; implicit-def: $vgpr8_vgpr9
	s_delay_alu instid0(VALU_DEP_1)
	v_sub_nc_u32_e32 v10, 0, v4
                                        ; implicit-def: $vgpr4_vgpr5
	v_cmpx_ne_u32_e32 0, v62
	s_wait_alu 0xfffe
	s_xor_b32 s1, exec_lo, s1
	s_cbranch_execz .LBB0_21
; %bb.20:
	v_mov_b32_e32 v63, 0
	ds_load_b128 v[11:14], v10 offset:8320
	v_lshlrev_b64_e32 v[4:5], 4, v[62:63]
	s_delay_alu instid0(VALU_DEP_1) | instskip(SKIP_1) | instid1(VALU_DEP_2)
	v_add_co_u32 v4, s0, s8, v4
	s_wait_alu 0xf1ff
	v_add_co_ci_u32_e64 v5, s0, s9, v5, s0
	global_load_b128 v[6:9], v[4:5], off offset:8112
	s_wait_dscnt 0x0
	v_add_f64_e64 v[4:5], v[0:1], -v[11:12]
	v_add_f64_e32 v[15:16], v[2:3], v[13:14]
	v_add_f64_e64 v[2:3], v[2:3], -v[13:14]
	v_add_f64_e32 v[0:1], v[0:1], v[11:12]
	s_delay_alu instid0(VALU_DEP_4) | instskip(NEXT) | instid1(VALU_DEP_4)
	v_mul_f64_e32 v[4:5], 0.5, v[4:5]
	v_mul_f64_e32 v[13:14], 0.5, v[15:16]
	s_delay_alu instid0(VALU_DEP_4) | instskip(SKIP_1) | instid1(VALU_DEP_3)
	v_mul_f64_e32 v[2:3], 0.5, v[2:3]
	s_wait_loadcnt 0x0
	v_mul_f64_e32 v[11:12], v[4:5], v[8:9]
	s_delay_alu instid0(VALU_DEP_2) | instskip(SKIP_1) | instid1(VALU_DEP_3)
	v_fma_f64 v[15:16], v[13:14], v[8:9], v[2:3]
	v_fma_f64 v[2:3], v[13:14], v[8:9], -v[2:3]
	v_fma_f64 v[8:9], v[0:1], 0.5, v[11:12]
	v_fma_f64 v[0:1], v[0:1], 0.5, -v[11:12]
	s_delay_alu instid0(VALU_DEP_4) | instskip(NEXT) | instid1(VALU_DEP_4)
	v_fma_f64 v[11:12], -v[6:7], v[4:5], v[15:16]
	v_fma_f64 v[2:3], -v[6:7], v[4:5], v[2:3]
	ds_store_b64 v162, v[11:12] offset:8
	ds_store_b64 v10, v[2:3] offset:8328
	v_fma_f64 v[4:5], v[13:14], v[6:7], v[8:9]
	v_fma_f64 v[6:7], -v[13:14], v[6:7], v[0:1]
	v_dual_mov_b32 v8, v62 :: v_dual_mov_b32 v9, v63
                                        ; implicit-def: $vgpr0_vgpr1
.LBB0_21:
	s_wait_alu 0xfffe
	s_and_not1_saveexec_b32 s0, s1
	s_cbranch_execz .LBB0_23
; %bb.22:
	s_wait_dscnt 0x0
	v_add_f64_e32 v[4:5], v[0:1], v[2:3]
	v_add_f64_e64 v[6:7], v[0:1], -v[2:3]
	s_mov_b32 s4, 0
	v_mov_b32_e32 v2, 0
	s_wait_alu 0xfffe
	s_mov_b32 s5, s4
	s_wait_alu 0xfffe
	v_dual_mov_b32 v0, s4 :: v_dual_mov_b32 v1, s5
	v_mov_b32_e32 v8, 0
	v_mov_b32_e32 v9, 0
	ds_store_b64 v162, v[0:1] offset:8
	ds_store_b64 v10, v[0:1] offset:8328
	ds_load_b64 v[0:1], v2 offset:4168
	s_wait_dscnt 0x0
	v_xor_b32_e32 v1, 0x80000000, v1
	ds_store_b64 v2, v[0:1] offset:4168
.LBB0_23:
	s_wait_alu 0xfffe
	s_or_b32 exec_lo, exec_lo, s0
	s_wait_dscnt 0x0
	v_lshlrev_b64_e32 v[0:1], 4, v[8:9]
	s_add_nc_u64 s[0:1], s[8:9], 0x1fb0
	s_wait_alu 0xfffe
	s_delay_alu instid0(VALU_DEP_1) | instskip(SKIP_1) | instid1(VALU_DEP_2)
	v_add_co_u32 v8, s0, s0, v0
	s_wait_alu 0xf1ff
	v_add_co_ci_u32_e64 v9, s0, s1, v1, s0
	s_clause 0x1
	global_load_b128 v[0:3], v[8:9], off offset:832
	global_load_b128 v[11:14], v[8:9], off offset:1664
	ds_store_b64 v162, v[4:5]
	ds_store_b64 v10, v[6:7] offset:8320
	ds_load_b128 v[4:7], v162 offset:832
	ds_load_b128 v[15:18], v10 offset:7488
	s_wait_dscnt 0x0
	v_add_f64_e64 v[19:20], v[4:5], -v[15:16]
	v_add_f64_e32 v[21:22], v[6:7], v[17:18]
	v_add_f64_e64 v[6:7], v[6:7], -v[17:18]
	v_add_f64_e32 v[4:5], v[4:5], v[15:16]
	s_delay_alu instid0(VALU_DEP_4) | instskip(NEXT) | instid1(VALU_DEP_4)
	v_mul_f64_e32 v[17:18], 0.5, v[19:20]
	v_mul_f64_e32 v[19:20], 0.5, v[21:22]
	s_delay_alu instid0(VALU_DEP_4) | instskip(SKIP_1) | instid1(VALU_DEP_3)
	v_mul_f64_e32 v[6:7], 0.5, v[6:7]
	s_wait_loadcnt 0x1
	v_mul_f64_e32 v[15:16], v[17:18], v[2:3]
	s_delay_alu instid0(VALU_DEP_2) | instskip(SKIP_1) | instid1(VALU_DEP_3)
	v_fma_f64 v[21:22], v[19:20], v[2:3], v[6:7]
	v_fma_f64 v[2:3], v[19:20], v[2:3], -v[6:7]
	v_fma_f64 v[6:7], v[4:5], 0.5, v[15:16]
	v_fma_f64 v[4:5], v[4:5], 0.5, -v[15:16]
	s_delay_alu instid0(VALU_DEP_4) | instskip(NEXT) | instid1(VALU_DEP_4)
	v_fma_f64 v[15:16], -v[0:1], v[17:18], v[21:22]
	v_fma_f64 v[2:3], -v[0:1], v[17:18], v[2:3]
	s_delay_alu instid0(VALU_DEP_4) | instskip(NEXT) | instid1(VALU_DEP_4)
	v_fma_f64 v[17:18], v[19:20], v[0:1], v[6:7]
	v_fma_f64 v[0:1], -v[19:20], v[0:1], v[4:5]
	global_load_b128 v[4:7], v[8:9], off offset:2496
	ds_store_2addr_b64 v162, v[17:18], v[15:16] offset0:104 offset1:105
	ds_store_b128 v10, v[0:3] offset:7488
	ds_load_b128 v[0:3], v162 offset:1664
	ds_load_b128 v[15:18], v10 offset:6656
	s_wait_dscnt 0x0
	v_add_f64_e64 v[19:20], v[0:1], -v[15:16]
	v_add_f64_e32 v[21:22], v[2:3], v[17:18]
	v_add_f64_e64 v[2:3], v[2:3], -v[17:18]
	v_add_f64_e32 v[0:1], v[0:1], v[15:16]
	s_delay_alu instid0(VALU_DEP_4) | instskip(NEXT) | instid1(VALU_DEP_4)
	v_mul_f64_e32 v[17:18], 0.5, v[19:20]
	v_mul_f64_e32 v[19:20], 0.5, v[21:22]
	s_delay_alu instid0(VALU_DEP_4) | instskip(SKIP_1) | instid1(VALU_DEP_3)
	v_mul_f64_e32 v[2:3], 0.5, v[2:3]
	s_wait_loadcnt 0x1
	v_mul_f64_e32 v[15:16], v[17:18], v[13:14]
	s_delay_alu instid0(VALU_DEP_2) | instskip(SKIP_1) | instid1(VALU_DEP_3)
	v_fma_f64 v[21:22], v[19:20], v[13:14], v[2:3]
	v_fma_f64 v[2:3], v[19:20], v[13:14], -v[2:3]
	v_fma_f64 v[13:14], v[0:1], 0.5, v[15:16]
	v_fma_f64 v[0:1], v[0:1], 0.5, -v[15:16]
	s_delay_alu instid0(VALU_DEP_4) | instskip(NEXT) | instid1(VALU_DEP_4)
	v_fma_f64 v[15:16], -v[11:12], v[17:18], v[21:22]
	v_fma_f64 v[2:3], -v[11:12], v[17:18], v[2:3]
	s_delay_alu instid0(VALU_DEP_4) | instskip(NEXT) | instid1(VALU_DEP_4)
	v_fma_f64 v[17:18], v[19:20], v[11:12], v[13:14]
	v_fma_f64 v[0:1], -v[19:20], v[11:12], v[0:1]
	global_load_b128 v[11:14], v[8:9], off offset:3328
	ds_store_2addr_b64 v162, v[17:18], v[15:16] offset0:208 offset1:209
	ds_store_b128 v10, v[0:3] offset:6656
	ds_load_b128 v[0:3], v162 offset:2496
	ds_load_b128 v[15:18], v10 offset:5824
	s_wait_dscnt 0x0
	v_add_f64_e64 v[8:9], v[0:1], -v[15:16]
	v_add_f64_e32 v[19:20], v[2:3], v[17:18]
	v_add_f64_e64 v[2:3], v[2:3], -v[17:18]
	v_add_f64_e32 v[0:1], v[0:1], v[15:16]
	s_delay_alu instid0(VALU_DEP_4) | instskip(NEXT) | instid1(VALU_DEP_4)
	v_mul_f64_e32 v[8:9], 0.5, v[8:9]
	v_mul_f64_e32 v[17:18], 0.5, v[19:20]
	s_delay_alu instid0(VALU_DEP_4) | instskip(SKIP_1) | instid1(VALU_DEP_3)
	v_mul_f64_e32 v[2:3], 0.5, v[2:3]
	s_wait_loadcnt 0x1
	v_mul_f64_e32 v[15:16], v[8:9], v[6:7]
	s_delay_alu instid0(VALU_DEP_2) | instskip(SKIP_1) | instid1(VALU_DEP_3)
	v_fma_f64 v[19:20], v[17:18], v[6:7], v[2:3]
	v_fma_f64 v[2:3], v[17:18], v[6:7], -v[2:3]
	v_fma_f64 v[6:7], v[0:1], 0.5, v[15:16]
	v_fma_f64 v[0:1], v[0:1], 0.5, -v[15:16]
	s_delay_alu instid0(VALU_DEP_4) | instskip(NEXT) | instid1(VALU_DEP_4)
	v_fma_f64 v[15:16], -v[4:5], v[8:9], v[19:20]
	v_fma_f64 v[2:3], -v[4:5], v[8:9], v[2:3]
	s_delay_alu instid0(VALU_DEP_4) | instskip(NEXT) | instid1(VALU_DEP_4)
	v_fma_f64 v[6:7], v[17:18], v[4:5], v[6:7]
	v_fma_f64 v[0:1], -v[17:18], v[4:5], v[0:1]
	v_add_nc_u32_e32 v17, 0x800, v162
	ds_store_2addr_b64 v17, v[6:7], v[15:16] offset0:56 offset1:57
	ds_store_b128 v10, v[0:3] offset:5824
	ds_load_b128 v[0:3], v162 offset:3328
	ds_load_b128 v[4:7], v10 offset:4992
	s_wait_dscnt 0x0
	v_add_f64_e64 v[8:9], v[0:1], -v[4:5]
	v_add_f64_e32 v[15:16], v[2:3], v[6:7]
	v_add_f64_e64 v[2:3], v[2:3], -v[6:7]
	v_add_f64_e32 v[0:1], v[0:1], v[4:5]
	s_delay_alu instid0(VALU_DEP_4) | instskip(NEXT) | instid1(VALU_DEP_4)
	v_mul_f64_e32 v[6:7], 0.5, v[8:9]
	v_mul_f64_e32 v[8:9], 0.5, v[15:16]
	s_delay_alu instid0(VALU_DEP_4) | instskip(SKIP_1) | instid1(VALU_DEP_3)
	v_mul_f64_e32 v[2:3], 0.5, v[2:3]
	s_wait_loadcnt 0x0
	v_mul_f64_e32 v[4:5], v[6:7], v[13:14]
	s_delay_alu instid0(VALU_DEP_2) | instskip(SKIP_1) | instid1(VALU_DEP_3)
	v_fma_f64 v[15:16], v[8:9], v[13:14], v[2:3]
	v_fma_f64 v[2:3], v[8:9], v[13:14], -v[2:3]
	v_fma_f64 v[13:14], v[0:1], 0.5, v[4:5]
	v_fma_f64 v[0:1], v[0:1], 0.5, -v[4:5]
	s_delay_alu instid0(VALU_DEP_4) | instskip(NEXT) | instid1(VALU_DEP_4)
	v_fma_f64 v[4:5], -v[11:12], v[6:7], v[15:16]
	v_fma_f64 v[2:3], -v[11:12], v[6:7], v[2:3]
	s_delay_alu instid0(VALU_DEP_4) | instskip(NEXT) | instid1(VALU_DEP_4)
	v_fma_f64 v[6:7], v[8:9], v[11:12], v[13:14]
	v_fma_f64 v[0:1], -v[8:9], v[11:12], v[0:1]
	ds_store_2addr_b64 v17, v[6:7], v[4:5] offset0:160 offset1:161
	ds_store_b128 v10, v[0:3] offset:4992
	global_wb scope:SCOPE_SE
	s_wait_dscnt 0x0
	s_barrier_signal -1
	s_barrier_wait -1
	global_inv scope:SCOPE_SE
	s_and_saveexec_b32 s0, vcc_lo
	s_cbranch_execz .LBB0_26
; %bb.24:
	v_mul_lo_u32 v2, s3, v64
	v_mul_lo_u32 v3, s2, v65
	v_mad_co_u64_u32 v[0:1], null, s2, v64, 0
	v_lshl_add_u32 v28, v62, 4, 0
	v_dual_mov_b32 v63, 0 :: v_dual_add_nc_u32 v12, 52, v62
	v_lshlrev_b64_e32 v[10:11], 4, v[60:61]
	v_add_nc_u32_e32 v26, 0x138, v62
	v_add_nc_u32_e32 v24, 0x104, v62
	v_add3_u32 v1, v1, v3, v2
	ds_load_b128 v[2:5], v28
	ds_load_b128 v[6:9], v28 offset:832
	v_mov_b32_e32 v13, v63
	v_lshlrev_b64_e32 v[14:15], 4, v[62:63]
	v_mov_b32_e32 v25, v63
	v_lshlrev_b64_e32 v[0:1], 4, v[0:1]
	v_mov_b32_e32 v27, v63
	s_delay_alu instid0(VALU_DEP_3) | instskip(NEXT) | instid1(VALU_DEP_3)
	v_lshlrev_b64_e32 v[24:25], 4, v[24:25]
	v_add_co_u32 v0, vcc_lo, s6, v0
	s_wait_alu 0xfffd
	s_delay_alu instid0(VALU_DEP_4) | instskip(NEXT) | instid1(VALU_DEP_2)
	v_add_co_ci_u32_e32 v1, vcc_lo, s7, v1, vcc_lo
	v_add_co_u32 v0, vcc_lo, v0, v10
	s_wait_alu 0xfffd
	s_delay_alu instid0(VALU_DEP_2) | instskip(SKIP_1) | instid1(VALU_DEP_3)
	v_add_co_ci_u32_e32 v1, vcc_lo, v1, v11, vcc_lo
	v_lshlrev_b64_e32 v[10:11], 4, v[12:13]
	v_add_co_u32 v12, vcc_lo, v0, v14
	s_wait_alu 0xfffd
	s_delay_alu instid0(VALU_DEP_3) | instskip(SKIP_1) | instid1(VALU_DEP_4)
	v_add_co_ci_u32_e32 v13, vcc_lo, v1, v15, vcc_lo
	v_add_nc_u32_e32 v14, 0x68, v62
	v_add_co_u32 v10, vcc_lo, v0, v10
	v_mov_b32_e32 v15, v63
	s_wait_alu 0xfffd
	v_add_co_ci_u32_e32 v11, vcc_lo, v1, v11, vcc_lo
	s_wait_dscnt 0x1
	global_store_b128 v[12:13], v[2:5], off
	s_wait_dscnt 0x0
	global_store_b128 v[10:11], v[6:9], off
	v_add_nc_u32_e32 v10, 0x9c, v62
	v_lshlrev_b64_e32 v[2:3], 4, v[14:15]
	v_dual_mov_b32 v11, v63 :: v_dual_add_nc_u32 v12, 0xd0, v62
	v_mov_b32_e32 v13, v63
	s_delay_alu instid0(VALU_DEP_3) | instskip(SKIP_1) | instid1(VALU_DEP_4)
	v_add_co_u32 v18, vcc_lo, v0, v2
	s_wait_alu 0xfffd
	v_add_co_ci_u32_e32 v19, vcc_lo, v1, v3, vcc_lo
	ds_load_b128 v[2:5], v28 offset:1664
	ds_load_b128 v[6:9], v28 offset:2496
	v_lshlrev_b64_e32 v[20:21], 4, v[10:11]
	v_lshlrev_b64_e32 v[22:23], 4, v[12:13]
	ds_load_b128 v[10:13], v28 offset:3328
	ds_load_b128 v[14:17], v28 offset:4160
	v_add_co_u32 v20, vcc_lo, v0, v20
	s_wait_alu 0xfffd
	v_add_co_ci_u32_e32 v21, vcc_lo, v1, v21, vcc_lo
	v_add_co_u32 v22, vcc_lo, v0, v22
	s_wait_alu 0xfffd
	v_add_co_ci_u32_e32 v23, vcc_lo, v1, v23, vcc_lo
	;; [unrolled: 3-line block ×3, first 2 shown]
	s_wait_dscnt 0x3
	global_store_b128 v[18:19], v[2:5], off
	s_wait_dscnt 0x2
	global_store_b128 v[20:21], v[6:9], off
	;; [unrolled: 2-line block ×4, first 2 shown]
	v_add_nc_u32_e32 v10, 0x16c, v62
	v_lshlrev_b64_e32 v[2:3], 4, v[26:27]
	v_dual_mov_b32 v11, v63 :: v_dual_add_nc_u32 v12, 0x1a0, v62
	v_dual_mov_b32 v13, v63 :: v_dual_add_nc_u32 v24, 0x1d4, v62
	v_mov_b32_e32 v25, v63
	s_delay_alu instid0(VALU_DEP_4)
	v_add_co_u32 v18, vcc_lo, v0, v2
	s_wait_alu 0xfffd
	v_add_co_ci_u32_e32 v19, vcc_lo, v1, v3, vcc_lo
	ds_load_b128 v[2:5], v28 offset:4992
	ds_load_b128 v[6:9], v28 offset:5824
	v_lshlrev_b64_e32 v[20:21], 4, v[10:11]
	v_lshlrev_b64_e32 v[22:23], 4, v[12:13]
	ds_load_b128 v[10:13], v28 offset:6656
	ds_load_b128 v[14:17], v28 offset:7488
	v_lshlrev_b64_e32 v[24:25], 4, v[24:25]
	v_add_co_u32 v20, vcc_lo, v0, v20
	s_wait_alu 0xfffd
	v_add_co_ci_u32_e32 v21, vcc_lo, v1, v21, vcc_lo
	v_add_co_u32 v22, vcc_lo, v0, v22
	s_wait_alu 0xfffd
	v_add_co_ci_u32_e32 v23, vcc_lo, v1, v23, vcc_lo
	;; [unrolled: 3-line block ×3, first 2 shown]
	v_cmp_eq_u32_e32 vcc_lo, 51, v62
	s_wait_dscnt 0x3
	global_store_b128 v[18:19], v[2:5], off
	s_wait_dscnt 0x2
	global_store_b128 v[20:21], v[6:9], off
	s_wait_dscnt 0x1
	global_store_b128 v[22:23], v[10:13], off
	s_wait_dscnt 0x0
	global_store_b128 v[24:25], v[14:17], off
	s_and_b32 exec_lo, exec_lo, vcc_lo
	s_cbranch_execz .LBB0_26
; %bb.25:
	ds_load_b128 v[2:5], v63 offset:8320
	s_wait_dscnt 0x0
	global_store_b128 v[0:1], v[2:5], off offset:8320
.LBB0_26:
	s_nop 0
	s_sendmsg sendmsg(MSG_DEALLOC_VGPRS)
	s_endpgm
	.section	.rodata,"a",@progbits
	.p2align	6, 0x0
	.amdhsa_kernel fft_rtc_back_len520_factors_13_10_4_wgs_52_tpt_52_dp_op_CI_CI_unitstride_sbrr_R2C_dirReg
		.amdhsa_group_segment_fixed_size 0
		.amdhsa_private_segment_fixed_size 0
		.amdhsa_kernarg_size 104
		.amdhsa_user_sgpr_count 2
		.amdhsa_user_sgpr_dispatch_ptr 0
		.amdhsa_user_sgpr_queue_ptr 0
		.amdhsa_user_sgpr_kernarg_segment_ptr 1
		.amdhsa_user_sgpr_dispatch_id 0
		.amdhsa_user_sgpr_private_segment_size 0
		.amdhsa_wavefront_size32 1
		.amdhsa_uses_dynamic_stack 0
		.amdhsa_enable_private_segment 0
		.amdhsa_system_sgpr_workgroup_id_x 1
		.amdhsa_system_sgpr_workgroup_id_y 0
		.amdhsa_system_sgpr_workgroup_id_z 0
		.amdhsa_system_sgpr_workgroup_info 0
		.amdhsa_system_vgpr_workitem_id 0
		.amdhsa_next_free_vgpr 239
		.amdhsa_next_free_sgpr 44
		.amdhsa_reserve_vcc 1
		.amdhsa_float_round_mode_32 0
		.amdhsa_float_round_mode_16_64 0
		.amdhsa_float_denorm_mode_32 3
		.amdhsa_float_denorm_mode_16_64 3
		.amdhsa_fp16_overflow 0
		.amdhsa_workgroup_processor_mode 1
		.amdhsa_memory_ordered 1
		.amdhsa_forward_progress 0
		.amdhsa_round_robin_scheduling 0
		.amdhsa_exception_fp_ieee_invalid_op 0
		.amdhsa_exception_fp_denorm_src 0
		.amdhsa_exception_fp_ieee_div_zero 0
		.amdhsa_exception_fp_ieee_overflow 0
		.amdhsa_exception_fp_ieee_underflow 0
		.amdhsa_exception_fp_ieee_inexact 0
		.amdhsa_exception_int_div_zero 0
	.end_amdhsa_kernel
	.text
.Lfunc_end0:
	.size	fft_rtc_back_len520_factors_13_10_4_wgs_52_tpt_52_dp_op_CI_CI_unitstride_sbrr_R2C_dirReg, .Lfunc_end0-fft_rtc_back_len520_factors_13_10_4_wgs_52_tpt_52_dp_op_CI_CI_unitstride_sbrr_R2C_dirReg
                                        ; -- End function
	.section	.AMDGPU.csdata,"",@progbits
; Kernel info:
; codeLenInByte = 9492
; NumSgprs: 46
; NumVgprs: 239
; ScratchSize: 0
; MemoryBound: 0
; FloatMode: 240
; IeeeMode: 1
; LDSByteSize: 0 bytes/workgroup (compile time only)
; SGPRBlocks: 5
; VGPRBlocks: 29
; NumSGPRsForWavesPerEU: 46
; NumVGPRsForWavesPerEU: 239
; Occupancy: 6
; WaveLimiterHint : 1
; COMPUTE_PGM_RSRC2:SCRATCH_EN: 0
; COMPUTE_PGM_RSRC2:USER_SGPR: 2
; COMPUTE_PGM_RSRC2:TRAP_HANDLER: 0
; COMPUTE_PGM_RSRC2:TGID_X_EN: 1
; COMPUTE_PGM_RSRC2:TGID_Y_EN: 0
; COMPUTE_PGM_RSRC2:TGID_Z_EN: 0
; COMPUTE_PGM_RSRC2:TIDIG_COMP_CNT: 0
	.text
	.p2alignl 7, 3214868480
	.fill 96, 4, 3214868480
	.type	__hip_cuid_ae31d12f02d9b88e,@object ; @__hip_cuid_ae31d12f02d9b88e
	.section	.bss,"aw",@nobits
	.globl	__hip_cuid_ae31d12f02d9b88e
__hip_cuid_ae31d12f02d9b88e:
	.byte	0                               ; 0x0
	.size	__hip_cuid_ae31d12f02d9b88e, 1

	.ident	"AMD clang version 19.0.0git (https://github.com/RadeonOpenCompute/llvm-project roc-6.4.0 25133 c7fe45cf4b819c5991fe208aaa96edf142730f1d)"
	.section	".note.GNU-stack","",@progbits
	.addrsig
	.addrsig_sym __hip_cuid_ae31d12f02d9b88e
	.amdgpu_metadata
---
amdhsa.kernels:
  - .args:
      - .actual_access:  read_only
        .address_space:  global
        .offset:         0
        .size:           8
        .value_kind:     global_buffer
      - .offset:         8
        .size:           8
        .value_kind:     by_value
      - .actual_access:  read_only
        .address_space:  global
        .offset:         16
        .size:           8
        .value_kind:     global_buffer
      - .actual_access:  read_only
        .address_space:  global
        .offset:         24
        .size:           8
        .value_kind:     global_buffer
      - .actual_access:  read_only
        .address_space:  global
        .offset:         32
        .size:           8
        .value_kind:     global_buffer
      - .offset:         40
        .size:           8
        .value_kind:     by_value
      - .actual_access:  read_only
        .address_space:  global
        .offset:         48
        .size:           8
        .value_kind:     global_buffer
      - .actual_access:  read_only
        .address_space:  global
        .offset:         56
        .size:           8
        .value_kind:     global_buffer
      - .offset:         64
        .size:           4
        .value_kind:     by_value
      - .actual_access:  read_only
        .address_space:  global
        .offset:         72
        .size:           8
        .value_kind:     global_buffer
      - .actual_access:  read_only
        .address_space:  global
        .offset:         80
        .size:           8
        .value_kind:     global_buffer
      - .actual_access:  read_only
        .address_space:  global
        .offset:         88
        .size:           8
        .value_kind:     global_buffer
      - .actual_access:  write_only
        .address_space:  global
        .offset:         96
        .size:           8
        .value_kind:     global_buffer
    .group_segment_fixed_size: 0
    .kernarg_segment_align: 8
    .kernarg_segment_size: 104
    .language:       OpenCL C
    .language_version:
      - 2
      - 0
    .max_flat_workgroup_size: 52
    .name:           fft_rtc_back_len520_factors_13_10_4_wgs_52_tpt_52_dp_op_CI_CI_unitstride_sbrr_R2C_dirReg
    .private_segment_fixed_size: 0
    .sgpr_count:     46
    .sgpr_spill_count: 0
    .symbol:         fft_rtc_back_len520_factors_13_10_4_wgs_52_tpt_52_dp_op_CI_CI_unitstride_sbrr_R2C_dirReg.kd
    .uniform_work_group_size: 1
    .uses_dynamic_stack: false
    .vgpr_count:     239
    .vgpr_spill_count: 0
    .wavefront_size: 32
    .workgroup_processor_mode: 1
amdhsa.target:   amdgcn-amd-amdhsa--gfx1201
amdhsa.version:
  - 1
  - 2
...

	.end_amdgpu_metadata
